;; amdgpu-corpus repo=ROCm/rocFFT kind=compiled arch=gfx1201 opt=O3
	.text
	.amdgcn_target "amdgcn-amd-amdhsa--gfx1201"
	.amdhsa_code_object_version 6
	.protected	fft_rtc_fwd_len1470_factors_2_3_5_7_7_wgs_210_tpt_210_halfLds_dp_ip_CI_unitstride_sbrr_R2C_dirReg ; -- Begin function fft_rtc_fwd_len1470_factors_2_3_5_7_7_wgs_210_tpt_210_halfLds_dp_ip_CI_unitstride_sbrr_R2C_dirReg
	.globl	fft_rtc_fwd_len1470_factors_2_3_5_7_7_wgs_210_tpt_210_halfLds_dp_ip_CI_unitstride_sbrr_R2C_dirReg
	.p2align	8
	.type	fft_rtc_fwd_len1470_factors_2_3_5_7_7_wgs_210_tpt_210_halfLds_dp_ip_CI_unitstride_sbrr_R2C_dirReg,@function
fft_rtc_fwd_len1470_factors_2_3_5_7_7_wgs_210_tpt_210_halfLds_dp_ip_CI_unitstride_sbrr_R2C_dirReg: ; @fft_rtc_fwd_len1470_factors_2_3_5_7_7_wgs_210_tpt_210_halfLds_dp_ip_CI_unitstride_sbrr_R2C_dirReg
; %bb.0:
	s_clause 0x2
	s_load_b128 s[4:7], s[0:1], 0x0
	s_load_b64 s[8:9], s[0:1], 0x50
	s_load_b64 s[10:11], s[0:1], 0x18
	v_mul_u32_u24_e32 v1, 0x139, v0
	v_mov_b32_e32 v3, 0
	s_delay_alu instid0(VALU_DEP_2) | instskip(NEXT) | instid1(VALU_DEP_1)
	v_lshrrev_b32_e32 v1, 16, v1
	v_add_nc_u32_e32 v5, ttmp9, v1
	v_mov_b32_e32 v1, 0
	v_mov_b32_e32 v2, 0
	;; [unrolled: 1-line block ×3, first 2 shown]
	s_wait_kmcnt 0x0
	v_cmp_lt_u64_e64 s2, s[6:7], 2
	s_delay_alu instid0(VALU_DEP_1)
	s_and_b32 vcc_lo, exec_lo, s2
	s_cbranch_vccnz .LBB0_8
; %bb.1:
	s_load_b64 s[2:3], s[0:1], 0x10
	v_mov_b32_e32 v1, 0
	v_mov_b32_e32 v2, 0
	s_add_nc_u64 s[12:13], s[10:11], 8
	s_mov_b64 s[14:15], 1
	s_wait_kmcnt 0x0
	s_add_nc_u64 s[16:17], s[2:3], 8
	s_mov_b32 s3, 0
.LBB0_2:                                ; =>This Inner Loop Header: Depth=1
	s_load_b64 s[18:19], s[16:17], 0x0
                                        ; implicit-def: $vgpr7_vgpr8
	s_mov_b32 s2, exec_lo
	s_wait_kmcnt 0x0
	v_or_b32_e32 v4, s19, v6
	s_delay_alu instid0(VALU_DEP_1)
	v_cmpx_ne_u64_e32 0, v[3:4]
	s_wait_alu 0xfffe
	s_xor_b32 s20, exec_lo, s2
	s_cbranch_execz .LBB0_4
; %bb.3:                                ;   in Loop: Header=BB0_2 Depth=1
	s_cvt_f32_u32 s2, s18
	s_cvt_f32_u32 s21, s19
	s_sub_nc_u64 s[24:25], 0, s[18:19]
	s_wait_alu 0xfffe
	s_delay_alu instid0(SALU_CYCLE_1) | instskip(SKIP_1) | instid1(SALU_CYCLE_2)
	s_fmamk_f32 s2, s21, 0x4f800000, s2
	s_wait_alu 0xfffe
	v_s_rcp_f32 s2, s2
	s_delay_alu instid0(TRANS32_DEP_1) | instskip(SKIP_1) | instid1(SALU_CYCLE_2)
	s_mul_f32 s2, s2, 0x5f7ffffc
	s_wait_alu 0xfffe
	s_mul_f32 s21, s2, 0x2f800000
	s_wait_alu 0xfffe
	s_delay_alu instid0(SALU_CYCLE_2) | instskip(SKIP_1) | instid1(SALU_CYCLE_2)
	s_trunc_f32 s21, s21
	s_wait_alu 0xfffe
	s_fmamk_f32 s2, s21, 0xcf800000, s2
	s_cvt_u32_f32 s23, s21
	s_wait_alu 0xfffe
	s_delay_alu instid0(SALU_CYCLE_1) | instskip(SKIP_1) | instid1(SALU_CYCLE_2)
	s_cvt_u32_f32 s22, s2
	s_wait_alu 0xfffe
	s_mul_u64 s[26:27], s[24:25], s[22:23]
	s_wait_alu 0xfffe
	s_mul_hi_u32 s29, s22, s27
	s_mul_i32 s28, s22, s27
	s_mul_hi_u32 s2, s22, s26
	s_mul_i32 s30, s23, s26
	s_wait_alu 0xfffe
	s_add_nc_u64 s[28:29], s[2:3], s[28:29]
	s_mul_hi_u32 s21, s23, s26
	s_mul_hi_u32 s31, s23, s27
	s_add_co_u32 s2, s28, s30
	s_wait_alu 0xfffe
	s_add_co_ci_u32 s2, s29, s21
	s_mul_i32 s26, s23, s27
	s_add_co_ci_u32 s27, s31, 0
	s_wait_alu 0xfffe
	s_add_nc_u64 s[26:27], s[2:3], s[26:27]
	s_wait_alu 0xfffe
	v_add_co_u32 v4, s2, s22, s26
	s_delay_alu instid0(VALU_DEP_1) | instskip(SKIP_1) | instid1(VALU_DEP_1)
	s_cmp_lg_u32 s2, 0
	s_add_co_ci_u32 s23, s23, s27
	v_readfirstlane_b32 s22, v4
	s_wait_alu 0xfffe
	s_delay_alu instid0(VALU_DEP_1)
	s_mul_u64 s[24:25], s[24:25], s[22:23]
	s_wait_alu 0xfffe
	s_mul_hi_u32 s27, s22, s25
	s_mul_i32 s26, s22, s25
	s_mul_hi_u32 s2, s22, s24
	s_mul_i32 s28, s23, s24
	s_wait_alu 0xfffe
	s_add_nc_u64 s[26:27], s[2:3], s[26:27]
	s_mul_hi_u32 s21, s23, s24
	s_mul_hi_u32 s22, s23, s25
	s_wait_alu 0xfffe
	s_add_co_u32 s2, s26, s28
	s_add_co_ci_u32 s2, s27, s21
	s_mul_i32 s24, s23, s25
	s_add_co_ci_u32 s25, s22, 0
	s_wait_alu 0xfffe
	s_add_nc_u64 s[24:25], s[2:3], s[24:25]
	s_wait_alu 0xfffe
	v_add_co_u32 v4, s2, v4, s24
	s_delay_alu instid0(VALU_DEP_1) | instskip(SKIP_1) | instid1(VALU_DEP_1)
	s_cmp_lg_u32 s2, 0
	s_add_co_ci_u32 s2, s23, s25
	v_mul_hi_u32 v13, v5, v4
	s_wait_alu 0xfffe
	v_mad_co_u64_u32 v[7:8], null, v5, s2, 0
	v_mad_co_u64_u32 v[9:10], null, v6, v4, 0
	;; [unrolled: 1-line block ×3, first 2 shown]
	s_delay_alu instid0(VALU_DEP_3) | instskip(SKIP_1) | instid1(VALU_DEP_4)
	v_add_co_u32 v4, vcc_lo, v13, v7
	s_wait_alu 0xfffd
	v_add_co_ci_u32_e32 v7, vcc_lo, 0, v8, vcc_lo
	s_delay_alu instid0(VALU_DEP_2) | instskip(SKIP_1) | instid1(VALU_DEP_2)
	v_add_co_u32 v4, vcc_lo, v4, v9
	s_wait_alu 0xfffd
	v_add_co_ci_u32_e32 v4, vcc_lo, v7, v10, vcc_lo
	s_wait_alu 0xfffd
	v_add_co_ci_u32_e32 v7, vcc_lo, 0, v12, vcc_lo
	s_delay_alu instid0(VALU_DEP_2) | instskip(SKIP_1) | instid1(VALU_DEP_2)
	v_add_co_u32 v4, vcc_lo, v4, v11
	s_wait_alu 0xfffd
	v_add_co_ci_u32_e32 v9, vcc_lo, 0, v7, vcc_lo
	s_delay_alu instid0(VALU_DEP_2) | instskip(SKIP_1) | instid1(VALU_DEP_3)
	v_mul_lo_u32 v10, s19, v4
	v_mad_co_u64_u32 v[7:8], null, s18, v4, 0
	v_mul_lo_u32 v11, s18, v9
	s_delay_alu instid0(VALU_DEP_2) | instskip(NEXT) | instid1(VALU_DEP_2)
	v_sub_co_u32 v7, vcc_lo, v5, v7
	v_add3_u32 v8, v8, v11, v10
	s_delay_alu instid0(VALU_DEP_1) | instskip(SKIP_1) | instid1(VALU_DEP_1)
	v_sub_nc_u32_e32 v10, v6, v8
	s_wait_alu 0xfffd
	v_subrev_co_ci_u32_e64 v10, s2, s19, v10, vcc_lo
	v_add_co_u32 v11, s2, v4, 2
	s_wait_alu 0xf1ff
	v_add_co_ci_u32_e64 v12, s2, 0, v9, s2
	v_sub_co_u32 v13, s2, v7, s18
	v_sub_co_ci_u32_e32 v8, vcc_lo, v6, v8, vcc_lo
	s_wait_alu 0xf1ff
	v_subrev_co_ci_u32_e64 v10, s2, 0, v10, s2
	s_delay_alu instid0(VALU_DEP_3) | instskip(NEXT) | instid1(VALU_DEP_3)
	v_cmp_le_u32_e32 vcc_lo, s18, v13
	v_cmp_eq_u32_e64 s2, s19, v8
	s_wait_alu 0xfffd
	v_cndmask_b32_e64 v13, 0, -1, vcc_lo
	v_cmp_le_u32_e32 vcc_lo, s19, v10
	s_wait_alu 0xfffd
	v_cndmask_b32_e64 v14, 0, -1, vcc_lo
	v_cmp_le_u32_e32 vcc_lo, s18, v7
	;; [unrolled: 3-line block ×3, first 2 shown]
	s_wait_alu 0xfffd
	v_cndmask_b32_e64 v15, 0, -1, vcc_lo
	v_cmp_eq_u32_e32 vcc_lo, s19, v10
	s_wait_alu 0xf1ff
	s_delay_alu instid0(VALU_DEP_2)
	v_cndmask_b32_e64 v7, v15, v7, s2
	s_wait_alu 0xfffd
	v_cndmask_b32_e32 v10, v14, v13, vcc_lo
	v_add_co_u32 v13, vcc_lo, v4, 1
	s_wait_alu 0xfffd
	v_add_co_ci_u32_e32 v14, vcc_lo, 0, v9, vcc_lo
	s_delay_alu instid0(VALU_DEP_3) | instskip(SKIP_2) | instid1(VALU_DEP_3)
	v_cmp_ne_u32_e32 vcc_lo, 0, v10
	s_wait_alu 0xfffd
	v_cndmask_b32_e32 v10, v13, v11, vcc_lo
	v_cndmask_b32_e32 v8, v14, v12, vcc_lo
	v_cmp_ne_u32_e32 vcc_lo, 0, v7
	s_wait_alu 0xfffd
	s_delay_alu instid0(VALU_DEP_2)
	v_dual_cndmask_b32 v7, v4, v10 :: v_dual_cndmask_b32 v8, v9, v8
.LBB0_4:                                ;   in Loop: Header=BB0_2 Depth=1
	s_wait_alu 0xfffe
	s_and_not1_saveexec_b32 s2, s20
	s_cbranch_execz .LBB0_6
; %bb.5:                                ;   in Loop: Header=BB0_2 Depth=1
	v_cvt_f32_u32_e32 v4, s18
	s_sub_co_i32 s20, 0, s18
	s_delay_alu instid0(VALU_DEP_1) | instskip(NEXT) | instid1(TRANS32_DEP_1)
	v_rcp_iflag_f32_e32 v4, v4
	v_mul_f32_e32 v4, 0x4f7ffffe, v4
	s_delay_alu instid0(VALU_DEP_1) | instskip(SKIP_1) | instid1(VALU_DEP_1)
	v_cvt_u32_f32_e32 v4, v4
	s_wait_alu 0xfffe
	v_mul_lo_u32 v7, s20, v4
	s_delay_alu instid0(VALU_DEP_1) | instskip(NEXT) | instid1(VALU_DEP_1)
	v_mul_hi_u32 v7, v4, v7
	v_add_nc_u32_e32 v4, v4, v7
	s_delay_alu instid0(VALU_DEP_1) | instskip(NEXT) | instid1(VALU_DEP_1)
	v_mul_hi_u32 v4, v5, v4
	v_mul_lo_u32 v7, v4, s18
	v_add_nc_u32_e32 v8, 1, v4
	s_delay_alu instid0(VALU_DEP_2) | instskip(NEXT) | instid1(VALU_DEP_1)
	v_sub_nc_u32_e32 v7, v5, v7
	v_subrev_nc_u32_e32 v9, s18, v7
	v_cmp_le_u32_e32 vcc_lo, s18, v7
	s_wait_alu 0xfffd
	s_delay_alu instid0(VALU_DEP_2) | instskip(NEXT) | instid1(VALU_DEP_1)
	v_dual_cndmask_b32 v7, v7, v9 :: v_dual_cndmask_b32 v4, v4, v8
	v_cmp_le_u32_e32 vcc_lo, s18, v7
	s_delay_alu instid0(VALU_DEP_2) | instskip(SKIP_1) | instid1(VALU_DEP_1)
	v_add_nc_u32_e32 v8, 1, v4
	s_wait_alu 0xfffd
	v_dual_cndmask_b32 v7, v4, v8 :: v_dual_mov_b32 v8, v3
.LBB0_6:                                ;   in Loop: Header=BB0_2 Depth=1
	s_wait_alu 0xfffe
	s_or_b32 exec_lo, exec_lo, s2
	s_load_b64 s[20:21], s[12:13], 0x0
	s_delay_alu instid0(VALU_DEP_1)
	v_mul_lo_u32 v4, v8, s18
	v_mul_lo_u32 v11, v7, s19
	v_mad_co_u64_u32 v[9:10], null, v7, s18, 0
	s_add_nc_u64 s[14:15], s[14:15], 1
	s_add_nc_u64 s[12:13], s[12:13], 8
	s_wait_alu 0xfffe
	v_cmp_ge_u64_e64 s2, s[14:15], s[6:7]
	s_add_nc_u64 s[16:17], s[16:17], 8
	s_delay_alu instid0(VALU_DEP_2) | instskip(NEXT) | instid1(VALU_DEP_3)
	v_add3_u32 v4, v10, v11, v4
	v_sub_co_u32 v5, vcc_lo, v5, v9
	s_wait_alu 0xfffd
	s_delay_alu instid0(VALU_DEP_2) | instskip(SKIP_3) | instid1(VALU_DEP_2)
	v_sub_co_ci_u32_e32 v4, vcc_lo, v6, v4, vcc_lo
	s_and_b32 vcc_lo, exec_lo, s2
	s_wait_kmcnt 0x0
	v_mul_lo_u32 v6, s21, v5
	v_mul_lo_u32 v4, s20, v4
	v_mad_co_u64_u32 v[1:2], null, s20, v5, v[1:2]
	s_delay_alu instid0(VALU_DEP_1)
	v_add3_u32 v2, v6, v2, v4
	s_wait_alu 0xfffe
	s_cbranch_vccnz .LBB0_9
; %bb.7:                                ;   in Loop: Header=BB0_2 Depth=1
	v_dual_mov_b32 v5, v7 :: v_dual_mov_b32 v6, v8
	s_branch .LBB0_2
.LBB0_8:
	v_dual_mov_b32 v8, v6 :: v_dual_mov_b32 v7, v5
.LBB0_9:
	s_lshl_b64 s[2:3], s[6:7], 3
	v_mul_hi_u32 v3, 0x1381382, v0
	s_wait_alu 0xfffe
	s_add_nc_u64 s[2:3], s[10:11], s[2:3]
	s_load_b64 s[0:1], s[0:1], 0x20
	s_load_b64 s[2:3], s[2:3], 0x0
	s_delay_alu instid0(VALU_DEP_1) | instskip(NEXT) | instid1(VALU_DEP_1)
	v_mul_u32_u24_e32 v3, 0xd2, v3
	v_sub_nc_u32_e32 v40, v0, v3
	s_delay_alu instid0(VALU_DEP_1)
	v_add_nc_u32_e32 v45, 0xd2, v40
	v_add_nc_u32_e32 v47, 0x1a4, v40
	;; [unrolled: 1-line block ×3, first 2 shown]
	s_wait_kmcnt 0x0
	v_cmp_gt_u64_e32 vcc_lo, s[0:1], v[7:8]
	v_mul_lo_u32 v3, s2, v8
	v_mul_lo_u32 v4, s3, v7
	v_mad_co_u64_u32 v[0:1], null, s2, v7, v[1:2]
	v_cmp_le_u64_e64 s0, s[0:1], v[7:8]
	s_delay_alu instid0(VALU_DEP_2) | instskip(NEXT) | instid1(VALU_DEP_2)
	v_add3_u32 v1, v4, v1, v3
	s_and_saveexec_b32 s1, s0
	s_wait_alu 0xfffe
	s_xor_b32 s0, exec_lo, s1
; %bb.10:
	v_add_nc_u32_e32 v45, 0xd2, v40
	v_add_nc_u32_e32 v47, 0x1a4, v40
	;; [unrolled: 1-line block ×3, first 2 shown]
; %bb.11:
	s_wait_alu 0xfffe
	s_or_saveexec_b32 s1, s0
	v_lshlrev_b64_e32 v[42:43], 4, v[0:1]
	s_wait_alu 0xfffe
	s_xor_b32 exec_lo, exec_lo, s1
	s_cbranch_execz .LBB0_13
; %bb.12:
	v_mov_b32_e32 v41, 0
	s_delay_alu instid0(VALU_DEP_2) | instskip(SKIP_2) | instid1(VALU_DEP_3)
	v_add_co_u32 v2, s0, s8, v42
	s_wait_alu 0xf1ff
	v_add_co_ci_u32_e64 v3, s0, s9, v43, s0
	v_lshlrev_b64_e32 v[0:1], 4, v[40:41]
	v_lshl_add_u32 v28, v40, 4, 0
	s_delay_alu instid0(VALU_DEP_2) | instskip(SKIP_1) | instid1(VALU_DEP_3)
	v_add_co_u32 v24, s0, v2, v0
	s_wait_alu 0xf1ff
	v_add_co_ci_u32_e64 v25, s0, v3, v1, s0
	s_clause 0x6
	global_load_b128 v[0:3], v[24:25], off
	global_load_b128 v[4:7], v[24:25], off offset:3360
	global_load_b128 v[8:11], v[24:25], off offset:6720
	global_load_b128 v[12:15], v[24:25], off offset:10080
	global_load_b128 v[16:19], v[24:25], off offset:13440
	global_load_b128 v[20:23], v[24:25], off offset:16800
	global_load_b128 v[24:27], v[24:25], off offset:20160
	s_wait_loadcnt 0x6
	ds_store_b128 v28, v[0:3]
	s_wait_loadcnt 0x5
	ds_store_b128 v28, v[4:7] offset:3360
	s_wait_loadcnt 0x4
	ds_store_b128 v28, v[8:11] offset:6720
	s_wait_loadcnt 0x3
	ds_store_b128 v28, v[12:15] offset:10080
	s_wait_loadcnt 0x2
	ds_store_b128 v28, v[16:19] offset:13440
	s_wait_loadcnt 0x1
	ds_store_b128 v28, v[20:23] offset:16800
	s_wait_loadcnt 0x0
	ds_store_b128 v28, v[24:27] offset:20160
.LBB0_13:
	s_or_b32 exec_lo, exec_lo, s1
	v_lshlrev_b32_e32 v41, 4, v40
	global_wb scope:SCOPE_SE
	s_wait_dscnt 0x0
	s_barrier_signal -1
	s_barrier_wait -1
	global_inv scope:SCOPE_SE
	v_add_nc_u32_e32 v49, 0, v41
	v_lshl_add_u32 v46, v45, 5, 0
	v_lshl_add_u32 v32, v47, 5, 0
	v_cmp_gt_u32_e64 s0, 0x69, v40
	ds_load_b128 v[0:3], v49 offset:11760
	ds_load_b128 v[8:11], v49
	ds_load_b128 v[12:15], v49 offset:3360
	ds_load_b128 v[4:7], v49 offset:15120
	;; [unrolled: 1-line block ×6, first 2 shown]
	global_wb scope:SCOPE_SE
	s_wait_dscnt 0x0
	s_barrier_signal -1
	s_barrier_wait -1
	global_inv scope:SCOPE_SE
	v_add_f64_e64 v[33:34], v[8:9], -v[0:1]
	v_add_f64_e64 v[35:36], v[10:11], -v[2:3]
	;; [unrolled: 1-line block ×8, first 2 shown]
	v_fma_f64 v[8:9], v[8:9], 2.0, -v[33:34]
	v_fma_f64 v[10:11], v[10:11], 2.0, -v[35:36]
	;; [unrolled: 1-line block ×8, first 2 shown]
	v_add_nc_u32_e32 v24, v49, v41
	ds_store_b128 v24, v[8:11]
	ds_store_b128 v24, v[33:36] offset:16
	ds_store_b128 v46, v[12:15]
	ds_store_b128 v46, v[50:53] offset:16
	;; [unrolled: 2-line block ×3, first 2 shown]
	s_and_saveexec_b32 s1, s0
	s_cbranch_execz .LBB0_15
; %bb.14:
	v_lshl_add_u32 v8, v44, 5, 0
	ds_store_b128 v8, v[0:3]
	ds_store_b128 v8, v[4:7] offset:16
.LBB0_15:
	s_wait_alu 0xfffe
	s_or_b32 exec_lo, exec_lo, s1
	v_lshlrev_b32_e32 v36, 4, v45
	global_wb scope:SCOPE_SE
	s_wait_dscnt 0x0
	s_barrier_signal -1
	s_barrier_wait -1
	global_inv scope:SCOPE_SE
	v_sub_nc_u32_e32 v12, v46, v36
	ds_load_b128 v[8:11], v49
	ds_load_b128 v[20:23], v49 offset:7840
	ds_load_b128 v[24:27], v49 offset:15680
	;; [unrolled: 1-line block ×3, first 2 shown]
	ds_load_b128 v[12:15], v12
	ds_load_b128 v[28:31], v49 offset:19040
	v_cmp_gt_u32_e64 s1, 0x46, v40
                                        ; implicit-def: $vgpr34_vgpr35
	s_delay_alu instid0(VALU_DEP_1)
	s_and_saveexec_b32 s2, s1
	s_cbranch_execz .LBB0_17
; %bb.16:
	v_lshlrev_b32_e32 v0, 4, v47
	s_delay_alu instid0(VALU_DEP_1)
	v_sub_nc_u32_e32 v0, v32, v0
	ds_load_b128 v[0:3], v0
	ds_load_b128 v[4:7], v49 offset:14560
	ds_load_b128 v[32:35], v49 offset:22400
.LBB0_17:
	s_wait_alu 0xfffe
	s_or_b32 exec_lo, exec_lo, s2
	v_and_b32_e32 v37, 1, v40
	s_mov_b32 s2, 0xe8584caa
	s_mov_b32 s3, 0x3febb67a
	;; [unrolled: 1-line block ×3, first 2 shown]
	s_wait_alu 0xfffe
	s_mov_b32 s6, s2
	v_lshlrev_b32_e32 v38, 5, v37
	s_clause 0x1
	global_load_b128 v[50:53], v38, s[4:5]
	global_load_b128 v[54:57], v38, s[4:5] offset:16
	global_wb scope:SCOPE_SE
	s_wait_loadcnt_dscnt 0x0
	s_barrier_signal -1
	s_barrier_wait -1
	global_inv scope:SCOPE_SE
	v_mul_f64_e32 v[38:39], v[22:23], v[52:53]
	v_mul_f64_e32 v[58:59], v[26:27], v[56:57]
	;; [unrolled: 1-line block ×12, first 2 shown]
	v_fma_f64 v[20:21], v[20:21], v[50:51], -v[38:39]
	v_fma_f64 v[24:25], v[24:25], v[54:55], -v[58:59]
	v_fma_f64 v[22:23], v[22:23], v[50:51], v[60:61]
	v_fma_f64 v[26:27], v[26:27], v[54:55], v[62:63]
	v_fma_f64 v[16:17], v[16:17], v[50:51], -v[64:65]
	v_fma_f64 v[28:29], v[28:29], v[54:55], -v[66:67]
	v_fma_f64 v[18:19], v[18:19], v[50:51], v[68:69]
	v_fma_f64 v[30:31], v[30:31], v[54:55], v[70:71]
	;; [unrolled: 4-line block ×3, first 2 shown]
	v_add_f64_e32 v[60:61], v[8:9], v[20:21]
	v_add_f64_e32 v[38:39], v[20:21], v[24:25]
	;; [unrolled: 1-line block ×3, first 2 shown]
	v_add_f64_e64 v[62:63], v[22:23], -v[26:27]
	v_add_f64_e32 v[52:53], v[16:17], v[28:29]
	v_add_f64_e32 v[22:23], v[10:11], v[22:23]
	;; [unrolled: 1-line block ×9, first 2 shown]
	v_add_f64_e64 v[72:73], v[18:19], -v[30:31]
	v_add_f64_e64 v[74:75], v[16:17], -v[28:29]
	;; [unrolled: 1-line block ×3, first 2 shown]
	v_lshrrev_b32_e32 v16, 1, v45
	v_add_f64_e32 v[17:18], v[60:61], v[24:25]
	v_fma_f64 v[8:9], v[38:39], -0.5, v[8:9]
	v_add_f64_e64 v[38:39], v[20:21], -v[24:25]
	v_fma_f64 v[10:11], v[50:51], -0.5, v[10:11]
	v_fma_f64 v[12:13], v[52:53], -0.5, v[12:13]
	v_add_f64_e32 v[19:20], v[22:23], v[26:27]
	v_fma_f64 v[14:15], v[54:55], -0.5, v[14:15]
	v_add_f64_e64 v[54:55], v[6:7], -v[34:35]
	v_fma_f64 v[56:57], v[56:57], -0.5, v[0:1]
	v_add_f64_e32 v[21:22], v[64:65], v[28:29]
	v_fma_f64 v[58:59], v[58:59], -0.5, v[2:3]
	v_add_f64_e32 v[23:24], v[66:67], v[30:31]
	v_add_f64_e32 v[4:5], v[68:69], v[32:33]
	;; [unrolled: 1-line block ×3, first 2 shown]
	v_lshrrev_b32_e32 v33, 1, v40
	v_mul_lo_u32 v34, v16, 6
	s_delay_alu instid0(VALU_DEP_2) | instskip(NEXT) | instid1(VALU_DEP_2)
	v_mul_u32_u24_e32 v16, 6, v33
	v_or_b32_e32 v34, v34, v37
	s_delay_alu instid0(VALU_DEP_2) | instskip(SKIP_1) | instid1(VALU_DEP_3)
	v_or_b32_e32 v33, v16, v37
	v_sub_nc_u32_e32 v16, 0, v36
	v_lshl_add_u32 v34, v34, 4, 0
	s_delay_alu instid0(VALU_DEP_3)
	v_lshl_add_u32 v33, v33, 4, 0
	v_fma_f64 v[25:26], v[62:63], s[2:3], v[8:9]
	s_wait_alu 0xfffe
	v_fma_f64 v[29:30], v[62:63], s[6:7], v[8:9]
	v_fma_f64 v[27:28], v[38:39], s[6:7], v[10:11]
	;; [unrolled: 1-line block ×11, first 2 shown]
	ds_store_b128 v33, v[17:20]
	ds_store_b128 v33, v[25:28] offset:32
	ds_store_b128 v33, v[29:32] offset:64
	ds_store_b128 v34, v[21:24]
	ds_store_b128 v34, v[50:53] offset:32
	ds_store_b128 v34, v[0:3] offset:64
	s_and_saveexec_b32 s2, s1
	s_cbranch_execz .LBB0_19
; %bb.18:
	v_lshrrev_b32_e32 v17, 1, v47
	s_delay_alu instid0(VALU_DEP_1) | instskip(NEXT) | instid1(VALU_DEP_1)
	v_mul_lo_u32 v17, v17, 6
	v_or_b32_e32 v17, v17, v37
	s_delay_alu instid0(VALU_DEP_1)
	v_lshl_add_u32 v17, v17, 4, 0
	ds_store_b128 v17, v[4:7]
	ds_store_b128 v17, v[8:11] offset:32
	ds_store_b128 v17, v[12:15] offset:64
.LBB0_19:
	s_wait_alu 0xfffe
	s_or_b32 exec_lo, exec_lo, s2
	global_wb scope:SCOPE_SE
	s_wait_dscnt 0x0
	s_barrier_signal -1
	s_barrier_wait -1
	global_inv scope:SCOPE_SE
	ds_load_b128 v[20:23], v49
	ds_load_b128 v[36:39], v49 offset:4704
	ds_load_b128 v[24:27], v49 offset:9408
	;; [unrolled: 1-line block ×4, first 2 shown]
	v_cmp_gt_u32_e64 s1, 0x54, v40
	v_add_nc_u32_e32 v50, v46, v16
                                        ; implicit-def: $vgpr18_vgpr19
	s_delay_alu instid0(VALU_DEP_2)
	s_and_saveexec_b32 s2, s1
	s_cbranch_execz .LBB0_21
; %bb.20:
	ds_load_b128 v[0:3], v50
	ds_load_b128 v[4:7], v49 offset:8064
	ds_load_b128 v[8:11], v49 offset:12768
	;; [unrolled: 1-line block ×4, first 2 shown]
.LBB0_21:
	s_wait_alu 0xfffe
	s_or_b32 exec_lo, exec_lo, s2
	v_and_b32_e32 v46, 0xff, v40
	s_mov_b32 s2, 0x134454ff
	s_mov_b32 s3, 0x3fee6f0e
	;; [unrolled: 1-line block ×3, first 2 shown]
	s_wait_alu 0xfffe
	s_mov_b32 s6, s2
	v_mul_lo_u16 v48, 0xab, v46
	s_mov_b32 s12, 0x4755a5e
	s_mov_b32 s13, 0x3fe2cf23
	;; [unrolled: 1-line block ×4, first 2 shown]
	v_lshrrev_b16 v48, 10, v48
	s_mov_b32 s14, 0x372fe950
	s_mov_b32 s15, 0x3fd3c6ef
	s_delay_alu instid0(VALU_DEP_1) | instskip(SKIP_1) | instid1(VALU_DEP_2)
	v_mul_lo_u16 v51, v48, 6
	v_and_b32_e32 v48, 0xffff, v48
	v_sub_nc_u16 v51, v40, v51
	s_delay_alu instid0(VALU_DEP_2) | instskip(NEXT) | instid1(VALU_DEP_2)
	v_mul_u32_u24_e32 v48, 0x1e0, v48
	v_and_b32_e32 v83, 0xff, v51
	s_delay_alu instid0(VALU_DEP_1)
	v_lshlrev_b32_e32 v63, 6, v83
	s_clause 0x3
	global_load_b128 v[51:54], v63, s[4:5] offset:64
	global_load_b128 v[55:58], v63, s[4:5] offset:80
	;; [unrolled: 1-line block ×4, first 2 shown]
	global_wb scope:SCOPE_SE
	s_wait_loadcnt_dscnt 0x0
	s_barrier_signal -1
	s_barrier_wait -1
	global_inv scope:SCOPE_SE
	v_mul_f64_e32 v[67:68], v[38:39], v[53:54]
	v_mul_f64_e32 v[69:70], v[26:27], v[57:58]
	;; [unrolled: 1-line block ×8, first 2 shown]
	v_fma_f64 v[36:37], v[36:37], v[51:52], -v[67:68]
	v_fma_f64 v[24:25], v[24:25], v[55:56], -v[69:70]
	;; [unrolled: 1-line block ×4, first 2 shown]
	v_fma_f64 v[26:27], v[26:27], v[55:56], v[57:58]
	v_fma_f64 v[30:31], v[30:31], v[59:60], v[61:62]
	;; [unrolled: 1-line block ×4, first 2 shown]
	v_add_f64_e32 v[59:60], v[20:21], v[36:37]
	v_add_f64_e32 v[51:52], v[24:25], v[28:29]
	;; [unrolled: 1-line block ×3, first 2 shown]
	v_add_f64_e64 v[67:68], v[36:37], -v[32:33]
	v_add_f64_e32 v[55:56], v[26:27], v[30:31]
	v_add_f64_e32 v[65:66], v[22:23], v[38:39]
	v_add_f64_e32 v[57:58], v[38:39], v[34:35]
	v_add_f64_e64 v[61:62], v[38:39], -v[34:35]
	v_add_f64_e64 v[63:64], v[26:27], -v[30:31]
	;; [unrolled: 1-line block ×8, first 2 shown]
	v_fma_f64 v[51:52], v[51:52], -0.5, v[20:21]
	v_fma_f64 v[20:21], v[53:54], -0.5, v[20:21]
	v_add_f64_e64 v[53:54], v[24:25], -v[28:29]
	v_fma_f64 v[55:56], v[55:56], -0.5, v[22:23]
	v_add_f64_e32 v[26:27], v[65:66], v[26:27]
	v_fma_f64 v[22:23], v[57:58], -0.5, v[22:23]
	v_add_f64_e64 v[57:58], v[36:37], -v[24:25]
	v_add_f64_e64 v[36:37], v[24:25], -v[36:37]
	v_add_f64_e32 v[24:25], v[59:60], v[24:25]
	v_add_f64_e32 v[38:39], v[38:39], v[77:78]
	v_fma_f64 v[59:60], v[61:62], s[2:3], v[51:52]
	s_wait_alu 0xfffe
	v_fma_f64 v[51:52], v[61:62], s[6:7], v[51:52]
	v_fma_f64 v[65:66], v[63:64], s[6:7], v[20:21]
	;; [unrolled: 1-line block ×7, first 2 shown]
	v_add_f64_e32 v[24:25], v[24:25], v[28:29]
	v_add_f64_e32 v[26:27], v[26:27], v[30:31]
	;; [unrolled: 1-line block ×5, first 2 shown]
	v_fma_f64 v[28:29], v[63:64], s[12:13], v[59:60]
	v_fma_f64 v[30:31], v[63:64], s[10:11], v[51:52]
	;; [unrolled: 1-line block ×8, first 2 shown]
	v_add_f64_e32 v[20:21], v[24:25], v[32:33]
	v_add_f64_e32 v[22:23], v[26:27], v[34:35]
	v_fma_f64 v[24:25], v[57:58], s[14:15], v[28:29]
	v_fma_f64 v[28:29], v[57:58], s[14:15], v[30:31]
	;; [unrolled: 1-line block ×8, first 2 shown]
	v_lshlrev_b32_e32 v51, 4, v83
	s_delay_alu instid0(VALU_DEP_1)
	v_add3_u32 v48, 0, v48, v51
	ds_store_b128 v48, v[20:23]
	ds_store_b128 v48, v[24:27] offset:96
	ds_store_b128 v48, v[32:35] offset:192
	;; [unrolled: 1-line block ×4, first 2 shown]
	s_and_saveexec_b32 s16, s1
	s_cbranch_execz .LBB0_23
; %bb.22:
	v_and_b32_e32 v20, 0xffff, v45
	s_delay_alu instid0(VALU_DEP_1) | instskip(NEXT) | instid1(VALU_DEP_1)
	v_mul_u32_u24_e32 v20, 0xaaab, v20
	v_lshrrev_b32_e32 v48, 18, v20
	s_delay_alu instid0(VALU_DEP_1) | instskip(NEXT) | instid1(VALU_DEP_1)
	v_mul_lo_u16 v20, v48, 6
	v_sub_nc_u16 v20, v45, v20
	s_delay_alu instid0(VALU_DEP_1) | instskip(NEXT) | instid1(VALU_DEP_1)
	v_and_b32_e32 v63, 0xffff, v20
	v_lshlrev_b32_e32 v32, 6, v63
	s_clause 0x3
	global_load_b128 v[20:23], v32, s[4:5] offset:80
	global_load_b128 v[24:27], v32, s[4:5] offset:64
	;; [unrolled: 1-line block ×4, first 2 shown]
	s_wait_loadcnt 0x3
	v_mul_f64_e32 v[36:37], v[8:9], v[22:23]
	s_wait_loadcnt 0x2
	v_mul_f64_e32 v[38:39], v[4:5], v[26:27]
	;; [unrolled: 2-line block ×4, first 2 shown]
	v_mul_f64_e32 v[22:23], v[10:11], v[22:23]
	v_mul_f64_e32 v[34:35], v[14:15], v[34:35]
	v_mul_f64_e32 v[26:27], v[6:7], v[26:27]
	v_mul_f64_e32 v[30:31], v[18:19], v[30:31]
	v_fma_f64 v[10:11], v[10:11], v[20:21], v[36:37]
	v_fma_f64 v[6:7], v[6:7], v[24:25], v[38:39]
	;; [unrolled: 1-line block ×4, first 2 shown]
	v_fma_f64 v[8:9], v[8:9], v[20:21], -v[22:23]
	v_fma_f64 v[12:13], v[12:13], v[32:33], -v[34:35]
	;; [unrolled: 1-line block ×4, first 2 shown]
	v_add_f64_e32 v[32:33], v[2:3], v[6:7]
	v_add_f64_e32 v[20:21], v[6:7], v[18:19]
	v_add_f64_e32 v[22:23], v[10:11], v[14:15]
	v_add_f64_e64 v[36:37], v[10:11], -v[14:15]
	v_add_f64_e32 v[24:25], v[8:9], v[12:13]
	v_add_f64_e32 v[34:35], v[0:1], v[4:5]
	;; [unrolled: 1-line block ×3, first 2 shown]
	v_add_f64_e64 v[28:29], v[4:5], -v[16:17]
	v_add_f64_e64 v[30:31], v[8:9], -v[12:13]
	v_add_f64_e64 v[38:39], v[14:15], -v[18:19]
	v_add_f64_e64 v[51:52], v[18:19], -v[14:15]
	v_add_f64_e64 v[53:54], v[8:9], -v[4:5]
	v_add_f64_e64 v[55:56], v[12:13], -v[16:17]
	v_add_f64_e64 v[4:5], v[4:5], -v[8:9]
	v_add_f64_e64 v[57:58], v[16:17], -v[12:13]
	v_fma_f64 v[20:21], v[20:21], -0.5, v[2:3]
	v_fma_f64 v[2:3], v[22:23], -0.5, v[2:3]
	v_add_f64_e64 v[22:23], v[6:7], -v[18:19]
	v_fma_f64 v[24:25], v[24:25], -0.5, v[0:1]
	v_add_f64_e32 v[8:9], v[34:35], v[8:9]
	v_fma_f64 v[0:1], v[26:27], -0.5, v[0:1]
	v_add_f64_e64 v[26:27], v[10:11], -v[6:7]
	v_add_f64_e64 v[6:7], v[6:7], -v[10:11]
	v_add_f64_e32 v[10:11], v[32:33], v[10:11]
	v_fma_f64 v[32:33], v[30:31], s[6:7], v[20:21]
	v_fma_f64 v[20:21], v[30:31], s[2:3], v[20:21]
	;; [unrolled: 1-line block ×8, first 2 shown]
	v_add_f64_e32 v[26:27], v[26:27], v[38:39]
	v_add_f64_e32 v[38:39], v[6:7], v[51:52]
	;; [unrolled: 1-line block ×6, first 2 shown]
	v_fma_f64 v[8:9], v[28:29], s[12:13], v[32:33]
	v_fma_f64 v[10:11], v[28:29], s[10:11], v[20:21]
	;; [unrolled: 1-line block ×8, first 2 shown]
	v_add_f64_e32 v[2:3], v[4:5], v[18:19]
	v_add_f64_e32 v[0:1], v[6:7], v[16:17]
	v_fma_f64 v[6:7], v[26:27], s[14:15], v[8:9]
	v_fma_f64 v[10:11], v[26:27], s[14:15], v[10:11]
	;; [unrolled: 1-line block ×8, first 2 shown]
	v_mul_lo_u16 v20, v48, 30
	v_lshlrev_b32_e32 v21, 4, v63
	s_delay_alu instid0(VALU_DEP_2) | instskip(NEXT) | instid1(VALU_DEP_1)
	v_and_b32_e32 v20, 0xffff, v20
	v_lshlrev_b32_e32 v20, 4, v20
	s_delay_alu instid0(VALU_DEP_1)
	v_add3_u32 v20, 0, v21, v20
	ds_store_b128 v20, v[0:3]
	ds_store_b128 v20, v[16:19] offset:96
	ds_store_b128 v20, v[8:11] offset:192
	;; [unrolled: 1-line block ×4, first 2 shown]
.LBB0_23:
	s_or_b32 exec_lo, exec_lo, s16
	v_mul_lo_u16 v0, 0x89, v46
	global_wb scope:SCOPE_SE
	s_wait_dscnt 0x0
	s_barrier_signal -1
	s_barrier_wait -1
	global_inv scope:SCOPE_SE
	v_lshrrev_b16 v46, 12, v0
	v_lshl_add_u32 v11, v47, 4, 0
	v_lshl_add_u32 v10, v44, 4, 0
	s_mov_b32 s6, 0x37e14327
	s_mov_b32 s10, 0xe976ee23
	v_mul_lo_u16 v0, v46, 30
	s_mov_b32 s7, 0x3fe948f6
	s_mov_b32 s11, 0xbfe11646
	;; [unrolled: 1-line block ×4, first 2 shown]
	v_sub_nc_u16 v0, v40, v0
	s_mov_b32 s12, 0x36b3c0b5
	s_mov_b32 s13, 0x3fac98ee
	;; [unrolled: 1-line block ×4, first 2 shown]
	v_and_b32_e32 v48, 0xff, v0
	s_mov_b32 s15, 0xbff2aaaa
	s_mov_b32 s16, 0x5476071b
	;; [unrolled: 1-line block ×4, first 2 shown]
	v_mul_u32_u24_e32 v0, 6, v48
	s_mov_b32 s19, 0xbfe77f67
	s_mov_b32 s23, 0xbfd5d0dc
	;; [unrolled: 1-line block ×3, first 2 shown]
	s_wait_alu 0xfffe
	s_mov_b32 s22, s20
	v_lshlrev_b32_e32 v8, 4, v0
	s_mov_b32 s24, 0x37c3f68c
	s_mov_b32 s25, 0x3fdc38aa
	s_clause 0x5
	global_load_b128 v[0:3], v8, s[4:5] offset:448
	global_load_b128 v[4:7], v8, s[4:5] offset:464
	;; [unrolled: 1-line block ×6, first 2 shown]
	ds_load_b128 v[28:31], v50
	ds_load_b128 v[32:35], v11
	ds_load_b128 v[36:39], v49 offset:20160
	ds_load_b128 v[51:54], v49 offset:16800
	ds_load_b128 v[55:58], v10
	s_wait_loadcnt_dscnt 0x504
	v_mul_f64_e32 v[59:60], v[30:31], v[2:3]
	v_mul_f64_e32 v[2:3], v[28:29], v[2:3]
	s_wait_loadcnt_dscnt 0x403
	v_mul_f64_e32 v[61:62], v[34:35], v[6:7]
	v_mul_f64_e32 v[63:64], v[32:33], v[6:7]
	ds_load_b128 v[6:9], v49 offset:13440
	s_wait_loadcnt_dscnt 0x303
	v_mul_f64_e32 v[65:66], v[38:39], v[14:15]
	v_mul_f64_e32 v[14:15], v[36:37], v[14:15]
	s_wait_loadcnt_dscnt 0x202
	v_mul_f64_e32 v[67:68], v[53:54], v[18:19]
	v_mul_f64_e32 v[18:19], v[51:52], v[18:19]
	;; [unrolled: 3-line block ×4, first 2 shown]
	v_fma_f64 v[28:29], v[28:29], v[0:1], -v[59:60]
	v_fma_f64 v[0:1], v[30:31], v[0:1], v[2:3]
	v_fma_f64 v[2:3], v[32:33], v[4:5], -v[61:62]
	v_fma_f64 v[4:5], v[34:35], v[4:5], v[63:64]
	;; [unrolled: 2-line block ×6, first 2 shown]
	v_add_f64_e32 v[22:23], v[28:29], v[30:31]
	v_add_f64_e32 v[24:25], v[0:1], v[12:13]
	;; [unrolled: 1-line block ×4, first 2 shown]
	v_add_f64_e64 v[14:15], v[2:3], -v[14:15]
	v_add_f64_e64 v[4:5], v[4:5], -v[16:17]
	;; [unrolled: 1-line block ×3, first 2 shown]
	v_add_f64_e32 v[2:3], v[18:19], v[6:7]
	v_add_f64_e32 v[16:17], v[20:21], v[8:9]
	v_add_f64_e64 v[6:7], v[6:7], -v[18:19]
	v_add_f64_e64 v[8:9], v[8:9], -v[20:21]
	;; [unrolled: 1-line block ×3, first 2 shown]
	v_add_f64_e32 v[0:1], v[26:27], v[22:23]
	v_add_f64_e32 v[20:21], v[32:33], v[24:25]
	v_add_f64_e64 v[51:52], v[4:5], -v[12:13]
	v_add_f64_e64 v[28:29], v[22:23], -v[2:3]
	;; [unrolled: 1-line block ×7, first 2 shown]
	v_add_f64_e32 v[14:15], v[6:7], v[14:15]
	v_add_f64_e32 v[4:5], v[8:9], v[4:5]
	v_add_f64_e64 v[6:7], v[18:19], -v[6:7]
	v_add_f64_e64 v[8:9], v[12:13], -v[8:9]
	;; [unrolled: 1-line block ×4, first 2 shown]
	v_add_f64_e32 v[53:54], v[2:3], v[0:1]
	v_add_f64_e32 v[20:21], v[16:17], v[20:21]
	v_add_f64_e64 v[16:17], v[16:17], -v[32:33]
	ds_load_b128 v[0:3], v49
	v_mul_f64_e32 v[59:60], s[2:3], v[51:52]
	global_wb scope:SCOPE_SE
	s_wait_dscnt 0x0
	s_barrier_signal -1
	s_barrier_wait -1
	global_inv scope:SCOPE_SE
	v_mul_f64_e32 v[28:29], s[6:7], v[28:29]
	v_mul_f64_e32 v[30:31], s[6:7], v[30:31]
	;; [unrolled: 1-line block ×6, first 2 shown]
	v_add_f64_e32 v[14:15], v[14:15], v[18:19]
	v_add_f64_e32 v[4:5], v[4:5], v[12:13]
	;; [unrolled: 1-line block ×4, first 2 shown]
	v_mul_f64_e32 v[32:33], s[12:13], v[16:17]
	v_fma_f64 v[12:13], v[55:56], s[12:13], v[28:29]
	v_fma_f64 v[16:17], v[16:17], s[12:13], v[30:31]
	;; [unrolled: 1-line block ×4, first 2 shown]
	v_fma_f64 v[34:35], v[38:39], s[2:3], -v[34:35]
	v_fma_f64 v[36:37], v[51:52], s[2:3], -v[36:37]
	s_wait_alu 0xfffe
	v_fma_f64 v[6:7], v[6:7], s[22:23], -v[57:58]
	v_fma_f64 v[8:9], v[8:9], s[22:23], -v[59:60]
	;; [unrolled: 1-line block ×5, first 2 shown]
	v_fma_f64 v[38:39], v[53:54], s[14:15], v[0:1]
	v_fma_f64 v[20:21], v[20:21], s[14:15], v[2:3]
	v_fma_f64 v[24:25], v[24:25], s[16:17], -v[32:33]
	v_fma_f64 v[32:33], v[14:15], s[24:25], v[18:19]
	v_fma_f64 v[51:52], v[4:5], s[24:25], v[55:56]
	;; [unrolled: 1-line block ×6, first 2 shown]
	v_add_f64_e32 v[53:54], v[12:13], v[38:39]
	v_add_f64_e32 v[55:56], v[16:17], v[20:21]
	;; [unrolled: 1-line block ×7, first 2 shown]
	v_add_f64_e64 v[6:7], v[55:56], -v[32:33]
	v_add_f64_e32 v[12:13], v[8:9], v[28:29]
	v_add_f64_e64 v[14:15], v[30:31], -v[36:37]
	v_add_f64_e64 v[16:17], v[22:23], -v[34:35]
	v_add_f64_e32 v[18:19], v[26:27], v[24:25]
	v_add_f64_e32 v[20:21], v[34:35], v[22:23]
	v_add_f64_e64 v[22:23], v[24:25], -v[26:27]
	v_add_f64_e64 v[24:25], v[28:29], -v[8:9]
	v_add_f64_e32 v[26:27], v[36:37], v[30:31]
	v_add_f64_e64 v[28:29], v[53:54], -v[51:52]
	v_add_f64_e32 v[30:31], v[32:33], v[55:56]
	v_and_b32_e32 v8, 0xffff, v46
	v_mul_u32_u24_e32 v9, 6, v40
	v_lshlrev_b32_e32 v32, 4, v48
	s_delay_alu instid0(VALU_DEP_3) | instskip(NEXT) | instid1(VALU_DEP_3)
	v_mul_u32_u24_e32 v8, 0xd20, v8
	v_lshlrev_b32_e32 v9, 4, v9
	s_delay_alu instid0(VALU_DEP_2)
	v_add3_u32 v8, 0, v8, v32
	ds_store_b128 v8, v[0:3]
	ds_store_b128 v8, v[4:7] offset:480
	ds_store_b128 v8, v[12:15] offset:960
	;; [unrolled: 1-line block ×6, first 2 shown]
	global_wb scope:SCOPE_SE
	s_wait_dscnt 0x0
	s_barrier_signal -1
	s_barrier_wait -1
	global_inv scope:SCOPE_SE
	s_clause 0x5
	global_load_b128 v[0:3], v9, s[4:5] offset:3328
	global_load_b128 v[4:7], v9, s[4:5] offset:3344
	;; [unrolled: 1-line block ×6, first 2 shown]
	ds_load_b128 v[28:31], v50
	ds_load_b128 v[32:35], v11
	ds_load_b128 v[36:39], v49 offset:20160
	ds_load_b128 v[51:54], v49 offset:16800
	ds_load_b128 v[55:58], v10
	s_wait_loadcnt_dscnt 0x504
	v_mul_f64_e32 v[59:60], v[30:31], v[2:3]
	v_mul_f64_e32 v[2:3], v[28:29], v[2:3]
	s_wait_loadcnt_dscnt 0x403
	v_mul_f64_e32 v[61:62], v[34:35], v[6:7]
	v_mul_f64_e32 v[63:64], v[32:33], v[6:7]
	s_wait_loadcnt_dscnt 0x302
	v_mul_f64_e32 v[65:66], v[38:39], v[14:15]
	v_mul_f64_e32 v[14:15], v[36:37], v[14:15]
	s_wait_loadcnt_dscnt 0x201
	v_mul_f64_e32 v[67:68], v[53:54], v[18:19]
	v_mul_f64_e32 v[18:19], v[51:52], v[18:19]
	ds_load_b128 v[6:9], v49 offset:13440
	s_wait_loadcnt_dscnt 0x101
	v_mul_f64_e32 v[69:70], v[57:58], v[22:23]
	v_mul_f64_e32 v[22:23], v[55:56], v[22:23]
	s_wait_loadcnt_dscnt 0x0
	v_mul_f64_e32 v[71:72], v[8:9], v[26:27]
	v_mul_f64_e32 v[26:27], v[6:7], v[26:27]
	v_fma_f64 v[28:29], v[28:29], v[0:1], -v[59:60]
	v_fma_f64 v[0:1], v[30:31], v[0:1], v[2:3]
	v_fma_f64 v[2:3], v[32:33], v[4:5], -v[61:62]
	v_fma_f64 v[4:5], v[34:35], v[4:5], v[63:64]
	;; [unrolled: 2-line block ×6, first 2 shown]
	v_add_f64_e32 v[22:23], v[28:29], v[30:31]
	v_add_f64_e32 v[24:25], v[0:1], v[12:13]
	v_add_f64_e32 v[26:27], v[2:3], v[14:15]
	v_add_f64_e32 v[32:33], v[4:5], v[16:17]
	v_add_f64_e64 v[14:15], v[2:3], -v[14:15]
	v_add_f64_e64 v[4:5], v[4:5], -v[16:17]
	;; [unrolled: 1-line block ×3, first 2 shown]
	v_add_f64_e32 v[2:3], v[18:19], v[6:7]
	v_add_f64_e32 v[16:17], v[20:21], v[8:9]
	v_add_f64_e64 v[6:7], v[6:7], -v[18:19]
	v_add_f64_e64 v[8:9], v[8:9], -v[20:21]
	;; [unrolled: 1-line block ×3, first 2 shown]
	v_add_f64_e32 v[0:1], v[26:27], v[22:23]
	v_add_f64_e32 v[20:21], v[32:33], v[24:25]
	v_add_f64_e64 v[51:52], v[4:5], -v[12:13]
	v_add_f64_e64 v[28:29], v[22:23], -v[2:3]
	;; [unrolled: 1-line block ×7, first 2 shown]
	v_add_f64_e32 v[14:15], v[6:7], v[14:15]
	v_add_f64_e32 v[4:5], v[8:9], v[4:5]
	v_add_f64_e64 v[6:7], v[18:19], -v[6:7]
	v_add_f64_e64 v[8:9], v[12:13], -v[8:9]
	;; [unrolled: 1-line block ×4, first 2 shown]
	v_add_f64_e32 v[53:54], v[2:3], v[0:1]
	v_add_f64_e32 v[20:21], v[16:17], v[20:21]
	v_add_f64_e64 v[16:17], v[16:17], -v[32:33]
	ds_load_b128 v[0:3], v49
	v_mul_f64_e32 v[59:60], s[2:3], v[51:52]
	global_wb scope:SCOPE_SE
	s_wait_dscnt 0x0
	s_barrier_signal -1
	s_barrier_wait -1
	global_inv scope:SCOPE_SE
	v_mul_f64_e32 v[28:29], s[6:7], v[28:29]
	v_mul_f64_e32 v[30:31], s[6:7], v[30:31]
	;; [unrolled: 1-line block ×6, first 2 shown]
	v_add_f64_e32 v[14:15], v[14:15], v[18:19]
	v_add_f64_e32 v[4:5], v[4:5], v[12:13]
	;; [unrolled: 1-line block ×4, first 2 shown]
	v_mul_f64_e32 v[32:33], s[12:13], v[16:17]
	v_fma_f64 v[12:13], v[55:56], s[12:13], v[28:29]
	v_fma_f64 v[16:17], v[16:17], s[12:13], v[30:31]
	;; [unrolled: 1-line block ×4, first 2 shown]
	v_fma_f64 v[34:35], v[38:39], s[2:3], -v[34:35]
	v_fma_f64 v[36:37], v[51:52], s[2:3], -v[36:37]
	;; [unrolled: 1-line block ×7, first 2 shown]
	s_mov_b32 s2, exec_lo
	v_fma_f64 v[38:39], v[53:54], s[14:15], v[0:1]
	v_fma_f64 v[20:21], v[20:21], s[14:15], v[2:3]
	v_fma_f64 v[24:25], v[24:25], s[16:17], -v[32:33]
	v_fma_f64 v[32:33], v[14:15], s[24:25], v[18:19]
	v_fma_f64 v[51:52], v[4:5], s[24:25], v[55:56]
	;; [unrolled: 1-line block ×6, first 2 shown]
	v_add_f64_e32 v[53:54], v[12:13], v[38:39]
	v_add_f64_e32 v[55:56], v[16:17], v[20:21]
	;; [unrolled: 1-line block ×7, first 2 shown]
	v_add_f64_e64 v[6:7], v[55:56], -v[32:33]
	v_add_f64_e32 v[12:13], v[8:9], v[28:29]
	v_add_f64_e64 v[14:15], v[30:31], -v[36:37]
	v_add_f64_e64 v[16:17], v[22:23], -v[34:35]
	v_add_f64_e32 v[18:19], v[26:27], v[24:25]
	v_add_f64_e32 v[20:21], v[34:35], v[22:23]
	v_add_f64_e64 v[22:23], v[24:25], -v[26:27]
	v_add_f64_e64 v[24:25], v[28:29], -v[8:9]
	v_add_f64_e32 v[26:27], v[36:37], v[30:31]
	v_add_f64_e64 v[28:29], v[53:54], -v[51:52]
	v_add_f64_e32 v[30:31], v[32:33], v[55:56]
                                        ; implicit-def: $vgpr8_vgpr9
	ds_store_b128 v49, v[0:3]
	ds_store_b128 v49, v[4:7] offset:3360
	ds_store_b128 v49, v[12:15] offset:6720
	;; [unrolled: 1-line block ×6, first 2 shown]
	global_wb scope:SCOPE_SE
	s_wait_dscnt 0x0
	s_barrier_signal -1
	s_barrier_wait -1
	global_inv scope:SCOPE_SE
	ds_load_b128 v[4:7], v49
	v_sub_nc_u32_e32 v12, 0, v41
                                        ; implicit-def: $vgpr2_vgpr3
	v_cmpx_ne_u32_e32 0, v40
	s_wait_alu 0xfffe
	s_xor_b32 s2, exec_lo, s2
	s_cbranch_execz .LBB0_25
; %bb.24:
	v_mov_b32_e32 v41, 0
	s_delay_alu instid0(VALU_DEP_1) | instskip(NEXT) | instid1(VALU_DEP_1)
	v_lshlrev_b64_e32 v[0:1], 4, v[40:41]
	v_add_co_u32 v0, s1, s4, v0
	s_wait_alu 0xf1ff
	s_delay_alu instid0(VALU_DEP_2)
	v_add_co_ci_u32_e64 v1, s1, s5, v1, s1
	global_load_b128 v[13:16], v[0:1], off offset:23488
	ds_load_b128 v[0:3], v12 offset:23520
	s_wait_dscnt 0x0
	v_add_f64_e64 v[8:9], v[4:5], -v[0:1]
	v_add_f64_e32 v[17:18], v[6:7], v[2:3]
	v_add_f64_e64 v[2:3], v[6:7], -v[2:3]
	v_add_f64_e32 v[0:1], v[4:5], v[0:1]
	s_delay_alu instid0(VALU_DEP_4) | instskip(NEXT) | instid1(VALU_DEP_4)
	v_mul_f64_e32 v[6:7], 0.5, v[8:9]
	v_mul_f64_e32 v[4:5], 0.5, v[17:18]
	s_delay_alu instid0(VALU_DEP_4) | instskip(SKIP_1) | instid1(VALU_DEP_3)
	v_mul_f64_e32 v[2:3], 0.5, v[2:3]
	s_wait_loadcnt 0x0
	v_mul_f64_e32 v[8:9], v[6:7], v[15:16]
	s_delay_alu instid0(VALU_DEP_2) | instskip(SKIP_1) | instid1(VALU_DEP_3)
	v_fma_f64 v[17:18], v[4:5], v[15:16], v[2:3]
	v_fma_f64 v[2:3], v[4:5], v[15:16], -v[2:3]
	v_fma_f64 v[19:20], v[0:1], 0.5, v[8:9]
	v_fma_f64 v[0:1], v[0:1], 0.5, -v[8:9]
	s_delay_alu instid0(VALU_DEP_4) | instskip(NEXT) | instid1(VALU_DEP_4)
	v_fma_f64 v[8:9], -v[13:14], v[6:7], v[17:18]
	v_fma_f64 v[2:3], -v[13:14], v[6:7], v[2:3]
	s_delay_alu instid0(VALU_DEP_4) | instskip(NEXT) | instid1(VALU_DEP_4)
	v_fma_f64 v[15:16], v[4:5], v[13:14], v[19:20]
	v_fma_f64 v[0:1], -v[4:5], v[13:14], v[0:1]
                                        ; implicit-def: $vgpr4_vgpr5
	ds_store_b64 v49, v[15:16]
.LBB0_25:
	s_wait_alu 0xfffe
	s_and_not1_saveexec_b32 s1, s2
	s_cbranch_execz .LBB0_27
; %bb.26:
	s_wait_dscnt 0x0
	v_add_f64_e32 v[13:14], v[4:5], v[6:7]
	v_add_f64_e64 v[0:1], v[4:5], -v[6:7]
	v_mov_b32_e32 v6, 0
	v_mov_b32_e32 v8, 0
	;; [unrolled: 1-line block ×3, first 2 shown]
	s_delay_alu instid0(VALU_DEP_2)
	v_mov_b32_e32 v2, v8
	ds_load_b64 v[4:5], v6 offset:11768
	v_mov_b32_e32 v3, v9
	s_wait_dscnt 0x0
	v_xor_b32_e32 v5, 0x80000000, v5
	ds_store_b64 v49, v[13:14]
	ds_store_b64 v6, v[4:5] offset:11768
.LBB0_27:
	s_wait_alu 0xfffe
	s_or_b32 exec_lo, exec_lo, s1
	v_mov_b32_e32 v46, 0
	s_wait_dscnt 0x0
	s_delay_alu instid0(VALU_DEP_1) | instskip(SKIP_1) | instid1(VALU_DEP_1)
	v_lshlrev_b64_e32 v[4:5], 4, v[45:46]
	v_mov_b32_e32 v48, v46
	v_lshlrev_b64_e32 v[13:14], 4, v[47:48]
	s_delay_alu instid0(VALU_DEP_3) | instskip(SKIP_1) | instid1(VALU_DEP_4)
	v_add_co_u32 v4, s1, s4, v4
	s_wait_alu 0xf1ff
	v_add_co_ci_u32_e64 v5, s1, s5, v5, s1
	s_delay_alu instid0(VALU_DEP_3)
	v_add_co_u32 v13, s1, s4, v13
	global_load_b128 v[4:7], v[4:5], off offset:23488
	s_wait_alu 0xf1ff
	v_add_co_ci_u32_e64 v14, s1, s5, v14, s1
	global_load_b128 v[13:16], v[13:14], off offset:23488
	ds_store_b64 v49, v[8:9] offset:8
	ds_store_b128 v12, v[0:3] offset:23520
	ds_load_b128 v[0:3], v50
	ds_load_b128 v[17:20], v12 offset:20160
	s_wait_dscnt 0x0
	v_add_f64_e64 v[8:9], v[0:1], -v[17:18]
	v_add_f64_e32 v[21:22], v[2:3], v[19:20]
	v_add_f64_e64 v[2:3], v[2:3], -v[19:20]
	v_add_f64_e32 v[0:1], v[0:1], v[17:18]
	s_delay_alu instid0(VALU_DEP_4) | instskip(NEXT) | instid1(VALU_DEP_4)
	v_mul_f64_e32 v[8:9], 0.5, v[8:9]
	v_mul_f64_e32 v[19:20], 0.5, v[21:22]
	s_delay_alu instid0(VALU_DEP_4) | instskip(SKIP_1) | instid1(VALU_DEP_3)
	v_mul_f64_e32 v[2:3], 0.5, v[2:3]
	s_wait_loadcnt 0x1
	v_mul_f64_e32 v[17:18], v[8:9], v[6:7]
	s_delay_alu instid0(VALU_DEP_2) | instskip(SKIP_1) | instid1(VALU_DEP_3)
	v_fma_f64 v[21:22], v[19:20], v[6:7], v[2:3]
	v_fma_f64 v[6:7], v[19:20], v[6:7], -v[2:3]
	v_fma_f64 v[23:24], v[0:1], 0.5, v[17:18]
	v_fma_f64 v[17:18], v[0:1], 0.5, -v[17:18]
	s_delay_alu instid0(VALU_DEP_4) | instskip(NEXT) | instid1(VALU_DEP_4)
	v_fma_f64 v[2:3], -v[4:5], v[8:9], v[21:22]
	v_fma_f64 v[6:7], -v[4:5], v[8:9], v[6:7]
	s_delay_alu instid0(VALU_DEP_4) | instskip(NEXT) | instid1(VALU_DEP_4)
	v_fma_f64 v[0:1], v[19:20], v[4:5], v[23:24]
	v_fma_f64 v[4:5], -v[19:20], v[4:5], v[17:18]
	ds_store_b128 v50, v[0:3]
	ds_store_b128 v12, v[4:7] offset:20160
	ds_load_b128 v[0:3], v11
	ds_load_b128 v[4:7], v12 offset:16800
	s_wait_dscnt 0x0
	v_add_f64_e64 v[8:9], v[0:1], -v[4:5]
	v_add_f64_e32 v[17:18], v[2:3], v[6:7]
	v_add_f64_e64 v[2:3], v[2:3], -v[6:7]
	v_add_f64_e32 v[0:1], v[0:1], v[4:5]
	s_delay_alu instid0(VALU_DEP_4) | instskip(NEXT) | instid1(VALU_DEP_4)
	v_mul_f64_e32 v[6:7], 0.5, v[8:9]
	v_mul_f64_e32 v[8:9], 0.5, v[17:18]
	s_delay_alu instid0(VALU_DEP_4) | instskip(SKIP_1) | instid1(VALU_DEP_3)
	v_mul_f64_e32 v[2:3], 0.5, v[2:3]
	s_wait_loadcnt 0x0
	v_mul_f64_e32 v[4:5], v[6:7], v[15:16]
	s_delay_alu instid0(VALU_DEP_2) | instskip(SKIP_1) | instid1(VALU_DEP_3)
	v_fma_f64 v[17:18], v[8:9], v[15:16], v[2:3]
	v_fma_f64 v[15:16], v[8:9], v[15:16], -v[2:3]
	v_fma_f64 v[19:20], v[0:1], 0.5, v[4:5]
	v_fma_f64 v[4:5], v[0:1], 0.5, -v[4:5]
	s_delay_alu instid0(VALU_DEP_4) | instskip(NEXT) | instid1(VALU_DEP_4)
	v_fma_f64 v[2:3], -v[13:14], v[6:7], v[17:18]
	v_fma_f64 v[6:7], -v[13:14], v[6:7], v[15:16]
	s_delay_alu instid0(VALU_DEP_4) | instskip(NEXT) | instid1(VALU_DEP_4)
	v_fma_f64 v[0:1], v[8:9], v[13:14], v[19:20]
	v_fma_f64 v[4:5], -v[8:9], v[13:14], v[4:5]
	ds_store_b128 v11, v[0:3]
	ds_store_b128 v12, v[4:7] offset:16800
	s_and_saveexec_b32 s1, s0
	s_cbranch_execz .LBB0_29
; %bb.28:
	v_mov_b32_e32 v45, v46
	s_delay_alu instid0(VALU_DEP_1) | instskip(NEXT) | instid1(VALU_DEP_1)
	v_lshlrev_b64_e32 v[0:1], 4, v[44:45]
	v_add_co_u32 v0, s0, s4, v0
	s_wait_alu 0xf1ff
	s_delay_alu instid0(VALU_DEP_2)
	v_add_co_ci_u32_e64 v1, s0, s5, v1, s0
	global_load_b128 v[0:3], v[0:1], off offset:23488
	ds_load_b128 v[4:7], v10
	ds_load_b128 v[13:16], v12 offset:13440
	s_wait_dscnt 0x0
	v_add_f64_e64 v[8:9], v[4:5], -v[13:14]
	v_add_f64_e32 v[17:18], v[6:7], v[15:16]
	v_add_f64_e64 v[6:7], v[6:7], -v[15:16]
	v_add_f64_e32 v[4:5], v[4:5], v[13:14]
	s_delay_alu instid0(VALU_DEP_4) | instskip(NEXT) | instid1(VALU_DEP_4)
	v_mul_f64_e32 v[8:9], 0.5, v[8:9]
	v_mul_f64_e32 v[15:16], 0.5, v[17:18]
	s_delay_alu instid0(VALU_DEP_4) | instskip(SKIP_1) | instid1(VALU_DEP_3)
	v_mul_f64_e32 v[6:7], 0.5, v[6:7]
	s_wait_loadcnt 0x0
	v_mul_f64_e32 v[13:14], v[8:9], v[2:3]
	s_delay_alu instid0(VALU_DEP_2) | instskip(SKIP_1) | instid1(VALU_DEP_3)
	v_fma_f64 v[17:18], v[15:16], v[2:3], v[6:7]
	v_fma_f64 v[2:3], v[15:16], v[2:3], -v[6:7]
	v_fma_f64 v[6:7], v[4:5], 0.5, v[13:14]
	v_fma_f64 v[13:14], v[4:5], 0.5, -v[13:14]
	s_delay_alu instid0(VALU_DEP_4) | instskip(NEXT) | instid1(VALU_DEP_4)
	v_fma_f64 v[4:5], -v[0:1], v[8:9], v[17:18]
	v_fma_f64 v[8:9], -v[0:1], v[8:9], v[2:3]
	s_delay_alu instid0(VALU_DEP_4) | instskip(NEXT) | instid1(VALU_DEP_4)
	v_fma_f64 v[2:3], v[15:16], v[0:1], v[6:7]
	v_fma_f64 v[6:7], -v[15:16], v[0:1], v[13:14]
	ds_store_b128 v10, v[2:5]
	ds_store_b128 v12, v[6:9] offset:13440
.LBB0_29:
	s_wait_alu 0xfffe
	s_or_b32 exec_lo, exec_lo, s1
	global_wb scope:SCOPE_SE
	s_wait_dscnt 0x0
	s_barrier_signal -1
	s_barrier_wait -1
	global_inv scope:SCOPE_SE
	s_and_saveexec_b32 s0, vcc_lo
	s_cbranch_execz .LBB0_32
; %bb.30:
	ds_load_b128 v[2:5], v49
	ds_load_b128 v[6:9], v49 offset:3360
	ds_load_b128 v[10:13], v49 offset:6720
	;; [unrolled: 1-line block ×6, first 2 shown]
	v_mov_b32_e32 v41, 0
	v_add_co_u32 v0, vcc_lo, s8, v42
	s_wait_alu 0xfffd
	v_add_co_ci_u32_e32 v1, vcc_lo, s9, v43, vcc_lo
	s_delay_alu instid0(VALU_DEP_3) | instskip(NEXT) | instid1(VALU_DEP_1)
	v_lshlrev_b64_e32 v[30:31], 4, v[40:41]
	v_add_co_u32 v30, vcc_lo, v0, v30
	s_wait_alu 0xfffd
	s_delay_alu instid0(VALU_DEP_2)
	v_add_co_ci_u32_e32 v31, vcc_lo, v1, v31, vcc_lo
	v_cmp_eq_u32_e32 vcc_lo, 0xd1, v40
	s_wait_dscnt 0x6
	global_store_b128 v[30:31], v[2:5], off
	s_wait_dscnt 0x5
	global_store_b128 v[30:31], v[6:9], off offset:3360
	s_wait_dscnt 0x4
	global_store_b128 v[30:31], v[10:13], off offset:6720
	;; [unrolled: 2-line block ×6, first 2 shown]
	s_and_b32 exec_lo, exec_lo, vcc_lo
	s_cbranch_execz .LBB0_32
; %bb.31:
	ds_load_b128 v[2:5], v41 offset:23520
	s_wait_dscnt 0x0
	global_store_b128 v[0:1], v[2:5], off offset:23520
.LBB0_32:
	s_nop 0
	s_sendmsg sendmsg(MSG_DEALLOC_VGPRS)
	s_endpgm
	.section	.rodata,"a",@progbits
	.p2align	6, 0x0
	.amdhsa_kernel fft_rtc_fwd_len1470_factors_2_3_5_7_7_wgs_210_tpt_210_halfLds_dp_ip_CI_unitstride_sbrr_R2C_dirReg
		.amdhsa_group_segment_fixed_size 0
		.amdhsa_private_segment_fixed_size 0
		.amdhsa_kernarg_size 88
		.amdhsa_user_sgpr_count 2
		.amdhsa_user_sgpr_dispatch_ptr 0
		.amdhsa_user_sgpr_queue_ptr 0
		.amdhsa_user_sgpr_kernarg_segment_ptr 1
		.amdhsa_user_sgpr_dispatch_id 0
		.amdhsa_user_sgpr_private_segment_size 0
		.amdhsa_wavefront_size32 1
		.amdhsa_uses_dynamic_stack 0
		.amdhsa_enable_private_segment 0
		.amdhsa_system_sgpr_workgroup_id_x 1
		.amdhsa_system_sgpr_workgroup_id_y 0
		.amdhsa_system_sgpr_workgroup_id_z 0
		.amdhsa_system_sgpr_workgroup_info 0
		.amdhsa_system_vgpr_workitem_id 0
		.amdhsa_next_free_vgpr 84
		.amdhsa_next_free_sgpr 32
		.amdhsa_reserve_vcc 1
		.amdhsa_float_round_mode_32 0
		.amdhsa_float_round_mode_16_64 0
		.amdhsa_float_denorm_mode_32 3
		.amdhsa_float_denorm_mode_16_64 3
		.amdhsa_fp16_overflow 0
		.amdhsa_workgroup_processor_mode 1
		.amdhsa_memory_ordered 1
		.amdhsa_forward_progress 0
		.amdhsa_round_robin_scheduling 0
		.amdhsa_exception_fp_ieee_invalid_op 0
		.amdhsa_exception_fp_denorm_src 0
		.amdhsa_exception_fp_ieee_div_zero 0
		.amdhsa_exception_fp_ieee_overflow 0
		.amdhsa_exception_fp_ieee_underflow 0
		.amdhsa_exception_fp_ieee_inexact 0
		.amdhsa_exception_int_div_zero 0
	.end_amdhsa_kernel
	.text
.Lfunc_end0:
	.size	fft_rtc_fwd_len1470_factors_2_3_5_7_7_wgs_210_tpt_210_halfLds_dp_ip_CI_unitstride_sbrr_R2C_dirReg, .Lfunc_end0-fft_rtc_fwd_len1470_factors_2_3_5_7_7_wgs_210_tpt_210_halfLds_dp_ip_CI_unitstride_sbrr_R2C_dirReg
                                        ; -- End function
	.section	.AMDGPU.csdata,"",@progbits
; Kernel info:
; codeLenInByte = 7952
; NumSgprs: 34
; NumVgprs: 84
; ScratchSize: 0
; MemoryBound: 0
; FloatMode: 240
; IeeeMode: 1
; LDSByteSize: 0 bytes/workgroup (compile time only)
; SGPRBlocks: 4
; VGPRBlocks: 10
; NumSGPRsForWavesPerEU: 34
; NumVGPRsForWavesPerEU: 84
; Occupancy: 16
; WaveLimiterHint : 1
; COMPUTE_PGM_RSRC2:SCRATCH_EN: 0
; COMPUTE_PGM_RSRC2:USER_SGPR: 2
; COMPUTE_PGM_RSRC2:TRAP_HANDLER: 0
; COMPUTE_PGM_RSRC2:TGID_X_EN: 1
; COMPUTE_PGM_RSRC2:TGID_Y_EN: 0
; COMPUTE_PGM_RSRC2:TGID_Z_EN: 0
; COMPUTE_PGM_RSRC2:TIDIG_COMP_CNT: 0
	.text
	.p2alignl 7, 3214868480
	.fill 96, 4, 3214868480
	.type	__hip_cuid_c5639c0b395b5809,@object ; @__hip_cuid_c5639c0b395b5809
	.section	.bss,"aw",@nobits
	.globl	__hip_cuid_c5639c0b395b5809
__hip_cuid_c5639c0b395b5809:
	.byte	0                               ; 0x0
	.size	__hip_cuid_c5639c0b395b5809, 1

	.ident	"AMD clang version 19.0.0git (https://github.com/RadeonOpenCompute/llvm-project roc-6.4.0 25133 c7fe45cf4b819c5991fe208aaa96edf142730f1d)"
	.section	".note.GNU-stack","",@progbits
	.addrsig
	.addrsig_sym __hip_cuid_c5639c0b395b5809
	.amdgpu_metadata
---
amdhsa.kernels:
  - .args:
      - .actual_access:  read_only
        .address_space:  global
        .offset:         0
        .size:           8
        .value_kind:     global_buffer
      - .offset:         8
        .size:           8
        .value_kind:     by_value
      - .actual_access:  read_only
        .address_space:  global
        .offset:         16
        .size:           8
        .value_kind:     global_buffer
      - .actual_access:  read_only
        .address_space:  global
        .offset:         24
        .size:           8
        .value_kind:     global_buffer
      - .offset:         32
        .size:           8
        .value_kind:     by_value
      - .actual_access:  read_only
        .address_space:  global
        .offset:         40
        .size:           8
        .value_kind:     global_buffer
      - .actual_access:  read_only
        .address_space:  global
        .offset:         48
        .size:           8
        .value_kind:     global_buffer
      - .offset:         56
        .size:           4
        .value_kind:     by_value
      - .actual_access:  read_only
        .address_space:  global
        .offset:         64
        .size:           8
        .value_kind:     global_buffer
      - .actual_access:  read_only
        .address_space:  global
        .offset:         72
        .size:           8
        .value_kind:     global_buffer
      - .address_space:  global
        .offset:         80
        .size:           8
        .value_kind:     global_buffer
    .group_segment_fixed_size: 0
    .kernarg_segment_align: 8
    .kernarg_segment_size: 88
    .language:       OpenCL C
    .language_version:
      - 2
      - 0
    .max_flat_workgroup_size: 210
    .name:           fft_rtc_fwd_len1470_factors_2_3_5_7_7_wgs_210_tpt_210_halfLds_dp_ip_CI_unitstride_sbrr_R2C_dirReg
    .private_segment_fixed_size: 0
    .sgpr_count:     34
    .sgpr_spill_count: 0
    .symbol:         fft_rtc_fwd_len1470_factors_2_3_5_7_7_wgs_210_tpt_210_halfLds_dp_ip_CI_unitstride_sbrr_R2C_dirReg.kd
    .uniform_work_group_size: 1
    .uses_dynamic_stack: false
    .vgpr_count:     84
    .vgpr_spill_count: 0
    .wavefront_size: 32
    .workgroup_processor_mode: 1
amdhsa.target:   amdgcn-amd-amdhsa--gfx1201
amdhsa.version:
  - 1
  - 2
...

	.end_amdgpu_metadata
